;; amdgpu-corpus repo=ROCm/rocFFT kind=compiled arch=gfx906 opt=O3
	.text
	.amdgcn_target "amdgcn-amd-amdhsa--gfx906"
	.amdhsa_code_object_version 6
	.protected	fft_rtc_fwd_len169_factors_13_13_wgs_156_tpt_13_half_op_CI_CI_sbrc_aligned_dirReg ; -- Begin function fft_rtc_fwd_len169_factors_13_13_wgs_156_tpt_13_half_op_CI_CI_sbrc_aligned_dirReg
	.globl	fft_rtc_fwd_len169_factors_13_13_wgs_156_tpt_13_half_op_CI_CI_sbrc_aligned_dirReg
	.p2align	8
	.type	fft_rtc_fwd_len169_factors_13_13_wgs_156_tpt_13_half_op_CI_CI_sbrc_aligned_dirReg,@function
fft_rtc_fwd_len169_factors_13_13_wgs_156_tpt_13_half_op_CI_CI_sbrc_aligned_dirReg: ; @fft_rtc_fwd_len169_factors_13_13_wgs_156_tpt_13_half_op_CI_CI_sbrc_aligned_dirReg
; %bb.0:
	s_load_dwordx8 s[8:15], s[4:5], 0x0
	s_mov_b32 s34, 0
	s_mov_b32 s30, 3
	s_mov_b64 s[36:37], 2
	s_waitcnt lgkmcnt(0)
	s_load_dword s0, s[12:13], 0x8
	s_load_dwordx4 s[20:23], s[4:5], 0x58
	s_load_dwordx2 s[28:29], s[4:5], 0x20
	s_load_dwordx4 s[24:27], s[14:15], 0x0
	s_mov_b32 s5, s34
	s_waitcnt lgkmcnt(0)
	s_add_i32 s0, s0, -1
	s_mul_hi_u32 s0, s0, 0xaaaaaaab
	s_lshr_b32 s0, s0, 3
	s_add_i32 s33, s0, 1
	v_cvt_f32_u32_e32 v1, s33
	s_sub_i32 s2, 0, s33
	s_load_dwordx4 s[16:19], s[28:29], 0x0
	v_cmp_gt_u64_e64 s[0:1], s[10:11], 2
	v_rcp_iflag_f32_e32 v1, v1
	v_mul_f32_e32 v1, 0x4f7ffffe, v1
	v_cvt_u32_f32_e32 v1, v1
	v_readfirstlane_b32 s3, v1
	s_mul_i32 s2, s2, s3
	s_mul_hi_u32 s2, s3, s2
	s_add_i32 s3, s3, s2
	s_mul_hi_u32 s2, s6, s3
	s_mul_i32 s3, s2, s33
	s_sub_i32 s3, s6, s3
	s_add_i32 s4, s2, 1
	s_sub_i32 s7, s3, s33
	s_cmp_ge_u32 s3, s33
	s_cselect_b32 s2, s4, s2
	s_cselect_b32 s3, s7, s3
	s_add_i32 s4, s2, 1
	s_cmp_ge_u32 s3, s33
	s_cselect_b32 s7, s4, s2
	s_mul_i32 s2, s7, s33
	s_sub_i32 s2, s6, s2
	s_mul_i32 s2, s2, 12
	s_waitcnt lgkmcnt(0)
	s_mul_i32 s3, s17, s2
	s_mul_hi_u32 s19, s16, s2
	s_mul_i32 s4, s2, s26
	s_mul_i32 s2, s16, s2
	s_add_i32 s3, s19, s3
	s_and_b64 vcc, exec, s[0:1]
	s_cbranch_vccz .LBB0_9
; %bb.1:
	v_mov_b32_e32 v1, s10
	v_mov_b32_e32 v2, s11
.LBB0_2:                                ; =>This Inner Loop Header: Depth=1
	s_lshl_b64 s[36:37], s[36:37], 3
	s_add_u32 s0, s12, s36
	s_addc_u32 s1, s13, s37
	s_load_dwordx2 s[38:39], s[0:1], 0x0
	s_waitcnt lgkmcnt(0)
	s_mov_b32 s35, s39
	s_cmp_lg_u64 s[34:35], 0
	s_cbranch_scc0 .LBB0_7
; %bb.3:                                ;   in Loop: Header=BB0_2 Depth=1
	v_cvt_f32_u32_e32 v3, s38
	v_cvt_f32_u32_e32 v4, s39
	s_sub_u32 s0, 0, s38
	s_subb_u32 s1, 0, s39
	v_mac_f32_e32 v3, 0x4f800000, v4
	v_rcp_f32_e32 v3, v3
	v_mul_f32_e32 v3, 0x5f7ffffc, v3
	v_mul_f32_e32 v4, 0x2f800000, v3
	v_trunc_f32_e32 v4, v4
	v_mac_f32_e32 v3, 0xcf800000, v4
	v_cvt_u32_f32_e32 v4, v4
	v_cvt_u32_f32_e32 v3, v3
	v_readfirstlane_b32 s19, v4
	v_readfirstlane_b32 s27, v3
	s_mul_i32 s31, s0, s19
	s_mul_hi_u32 s40, s0, s27
	s_mul_i32 s35, s1, s27
	s_add_i32 s31, s40, s31
	s_mul_i32 s41, s0, s27
	s_add_i32 s31, s31, s35
	s_mul_hi_u32 s35, s27, s31
	s_mul_i32 s40, s27, s31
	s_mul_hi_u32 s27, s27, s41
	s_add_u32 s27, s27, s40
	s_addc_u32 s35, 0, s35
	s_mul_hi_u32 s42, s19, s41
	s_mul_i32 s41, s19, s41
	s_add_u32 s27, s27, s41
	s_mul_hi_u32 s40, s19, s31
	s_addc_u32 s27, s35, s42
	s_addc_u32 s35, s40, 0
	s_mul_i32 s31, s19, s31
	s_add_u32 s27, s27, s31
	s_addc_u32 s31, 0, s35
	v_add_co_u32_e32 v3, vcc, s27, v3
	s_cmp_lg_u64 vcc, 0
	s_addc_u32 s19, s19, s31
	v_readfirstlane_b32 s31, v3
	s_mul_i32 s27, s0, s19
	s_mul_hi_u32 s35, s0, s31
	s_add_i32 s27, s35, s27
	s_mul_i32 s1, s1, s31
	s_add_i32 s27, s27, s1
	s_mul_i32 s0, s0, s31
	s_mul_hi_u32 s35, s19, s0
	s_mul_i32 s40, s19, s0
	s_mul_i32 s42, s31, s27
	s_mul_hi_u32 s0, s31, s0
	s_mul_hi_u32 s41, s31, s27
	s_add_u32 s0, s0, s42
	s_addc_u32 s31, 0, s41
	s_add_u32 s0, s0, s40
	s_mul_hi_u32 s1, s19, s27
	s_addc_u32 s0, s31, s35
	s_addc_u32 s1, s1, 0
	s_mul_i32 s27, s19, s27
	s_add_u32 s0, s0, s27
	s_addc_u32 s1, 0, s1
	v_add_co_u32_e32 v3, vcc, s0, v3
	s_cmp_lg_u64 vcc, 0
	s_addc_u32 s0, s19, s1
	v_readfirstlane_b32 s19, v3
	s_mul_hi_u32 s1, s7, s0
	s_mul_i32 s0, s7, s0
	s_mul_hi_u32 s19, s7, s19
	s_add_u32 s0, s19, s0
	s_addc_u32 s19, 0, s1
	s_mul_i32 s0, s39, s19
	s_mul_hi_u32 s1, s38, s19
	s_add_i32 s27, s1, s0
	s_mul_i32 s1, s38, s19
	v_mov_b32_e32 v3, s1
	s_sub_i32 s0, 0, s27
	v_sub_co_u32_e32 v3, vcc, s7, v3
	s_cmp_lg_u64 vcc, 0
	s_subb_u32 s31, s0, s39
	v_subrev_co_u32_e64 v4, s[0:1], s38, v3
	s_cmp_lg_u64 s[0:1], 0
	s_subb_u32 s0, s31, 0
	s_cmp_ge_u32 s0, s39
	v_readfirstlane_b32 s31, v4
	s_cselect_b32 s1, -1, 0
	s_cmp_ge_u32 s31, s38
	s_cselect_b32 s31, -1, 0
	s_cmp_eq_u32 s0, s39
	s_cselect_b32 s0, s31, s1
	s_add_u32 s1, s19, 1
	s_addc_u32 s31, 0, 0
	s_add_u32 s35, s19, 2
	s_addc_u32 s40, 0, 0
	s_cmp_lg_u32 s0, 0
	s_cselect_b32 s0, s35, s1
	s_cselect_b32 s1, s40, s31
	s_cmp_lg_u64 vcc, 0
	s_subb_u32 s27, 0, s27
	s_cmp_ge_u32 s27, s39
	v_readfirstlane_b32 s35, v3
	s_cselect_b32 s31, -1, 0
	s_cmp_ge_u32 s35, s38
	s_cselect_b32 s35, -1, 0
	s_cmp_eq_u32 s27, s39
	s_cselect_b32 s27, s35, s31
	s_cmp_lg_u32 s27, 0
	s_cselect_b32 s1, s1, 0
	s_cselect_b32 s0, s0, s19
	s_cbranch_execnz .LBB0_5
.LBB0_4:                                ;   in Loop: Header=BB0_2 Depth=1
	v_cvt_f32_u32_e32 v3, s38
	s_sub_i32 s0, 0, s38
	v_rcp_iflag_f32_e32 v3, v3
	v_mul_f32_e32 v3, 0x4f7ffffe, v3
	v_cvt_u32_f32_e32 v3, v3
	v_readfirstlane_b32 s1, v3
	s_mul_i32 s0, s0, s1
	s_mul_hi_u32 s0, s1, s0
	s_add_i32 s1, s1, s0
	s_mul_hi_u32 s0, s7, s1
	s_mul_i32 s19, s0, s38
	s_sub_i32 s19, s7, s19
	s_add_i32 s1, s0, 1
	s_sub_i32 s27, s19, s38
	s_cmp_ge_u32 s19, s38
	s_cselect_b32 s0, s1, s0
	s_cselect_b32 s19, s27, s19
	s_add_i32 s1, s0, 1
	s_cmp_ge_u32 s19, s38
	s_cselect_b32 s0, s1, s0
	s_mov_b32 s1, s34
.LBB0_5:                                ;   in Loop: Header=BB0_2 Depth=1
	s_mul_i32 s19, s0, s39
	s_mul_hi_u32 s27, s0, s38
	s_add_i32 s19, s27, s19
	s_mul_i32 s1, s1, s38
	s_add_i32 s19, s19, s1
	s_mul_i32 s1, s0, s38
	s_sub_u32 s1, s7, s1
	s_subb_u32 s7, 0, s19
	s_add_u32 s40, s14, s36
	s_addc_u32 s41, s15, s37
	s_load_dwordx2 s[40:41], s[40:41], 0x0
	s_mov_b32 s31, s34
	v_cmp_ge_u64_e32 vcc, s[30:31], v[1:2]
	s_mul_i32 s33, s33, s38
	s_waitcnt lgkmcnt(0)
	s_mul_i32 s19, s40, s7
	s_mul_hi_u32 s27, s40, s1
	s_add_i32 s19, s27, s19
	s_mul_i32 s27, s41, s1
	s_add_i32 s19, s19, s27
	s_mul_i32 s27, s40, s1
	s_add_u32 s4, s27, s4
	s_addc_u32 s5, s19, s5
	s_add_u32 s36, s28, s36
	s_addc_u32 s37, s29, s37
	s_load_dwordx2 s[36:37], s[36:37], 0x0
	s_waitcnt lgkmcnt(0)
	s_mul_i32 s7, s36, s7
	s_mul_hi_u32 s19, s36, s1
	s_add_i32 s7, s19, s7
	s_mul_i32 s19, s37, s1
	s_add_i32 s7, s7, s19
	s_mul_i32 s1, s36, s1
	s_add_u32 s2, s1, s2
	s_addc_u32 s3, s7, s3
	s_mov_b64 s[36:37], s[30:31]
	s_add_i32 s30, s30, 1
	s_cbranch_vccnz .LBB0_8
; %bb.6:                                ;   in Loop: Header=BB0_2 Depth=1
	s_mov_b32 s7, s0
	s_branch .LBB0_2
.LBB0_7:                                ;   in Loop: Header=BB0_2 Depth=1
                                        ; implicit-def: $sgpr0_sgpr1
	s_branch .LBB0_4
.LBB0_8:
	v_cvt_f32_u32_e32 v1, s33
	s_sub_i32 s0, 0, s33
	v_rcp_iflag_f32_e32 v1, v1
	v_mul_f32_e32 v1, 0x4f7ffffe, v1
	v_cvt_u32_f32_e32 v1, v1
	v_readfirstlane_b32 s1, v1
	s_mul_i32 s0, s0, s1
	s_mul_hi_u32 s0, s1, s0
	s_add_i32 s1, s1, s0
	s_mul_hi_u32 s0, s6, s1
	s_mul_i32 s1, s0, s33
	s_sub_i32 s1, s6, s1
	s_add_i32 s7, s0, 1
	s_sub_i32 s6, s1, s33
	s_cmp_ge_u32 s1, s33
	s_cselect_b32 s0, s7, s0
	s_cselect_b32 s1, s6, s1
	s_add_i32 s6, s0, 1
	s_cmp_ge_u32 s1, s33
	s_cselect_b32 s7, s6, s0
.LBB0_9:
	s_lshl_b64 s[0:1], s[10:11], 3
	s_add_u32 s10, s14, s0
	s_addc_u32 s11, s15, s1
	s_load_dwordx2 s[10:11], s[10:11], 0x0
	v_mul_u32_u24_e32 v1, 0x184, v0
	v_lshrrev_b32_e32 v3, 16, v1
	v_mul_lo_u16_e32 v1, 0xa9, v3
	v_sub_u16_e32 v4, v0, v1
	v_mad_u64_u32 v[5:6], s[12:13], s24, v4, 0
	s_waitcnt lgkmcnt(0)
	s_mul_i32 s6, s11, s7
	s_mul_hi_u32 s11, s10, s7
	s_add_i32 s11, s11, s6
	s_add_u32 s0, s28, s0
	s_addc_u32 s1, s29, s1
	v_mov_b32_e32 v1, v6
	s_load_dwordx2 s[0:1], s[0:1], 0x0
	v_mad_u64_u32 v[1:2], s[12:13], s25, v4, v[1:2]
	s_mul_i32 s10, s10, s7
	s_lshl_b64 s[10:11], s[10:11], 2
	v_mov_b32_e32 v6, v1
	s_waitcnt lgkmcnt(0)
	s_mul_i32 s1, s1, s7
	s_mul_hi_u32 s6, s0, s7
	v_lshlrev_b64 v[7:8], 2, v[5:6]
	v_add_u16_e32 v6, 0x9c, v0
	s_add_i32 s1, s6, s1
	v_mul_u32_u24_e32 v5, 0x184, v6
	s_add_u32 s6, s20, s10
	v_lshrrev_b32_e32 v5, 16, v5
	s_addc_u32 s10, s21, s11
	s_lshl_b64 s[4:5], s[4:5], 2
	v_mul_lo_u16_e32 v9, 0xa9, v5
	s_add_u32 s4, s6, s4
	v_sub_u16_e32 v6, v6, v9
	v_mul_lo_u32 v1, s26, v3
	s_addc_u32 s5, s10, s5
	v_mad_u64_u32 v[9:10], s[10:11], s24, v6, 0
	v_mov_b32_e32 v2, 0
	v_mov_b32_e32 v11, s5
	v_add_co_u32_e32 v12, vcc, s4, v7
	v_addc_co_u32_e32 v13, vcc, v11, v8, vcc
	v_lshlrev_b64 v[7:8], 2, v[1:2]
	v_mov_b32_e32 v1, v10
	v_mad_u64_u32 v[10:11], s[10:11], s25, v6, v[1:2]
	v_add_co_u32_e32 v11, vcc, v12, v7
	v_addc_co_u32_e32 v12, vcc, v13, v8, vcc
	v_add_u16_e32 v8, 0x138, v0
	v_mul_u32_u24_e32 v7, 0x184, v8
	v_lshrrev_b32_e32 v7, 16, v7
	v_mul_lo_u16_e32 v13, 0xa9, v7
	v_sub_u16_e32 v8, v8, v13
	v_mul_lo_u32 v1, s26, v5
	v_mad_u64_u32 v[13:14], s[10:11], s24, v8, 0
	v_lshlrev_b64 v[9:10], 2, v[9:10]
	v_mov_b32_e32 v15, s5
	v_add_co_u32_e32 v16, vcc, s4, v9
	v_addc_co_u32_e32 v17, vcc, v15, v10, vcc
	v_lshlrev_b64 v[9:10], 2, v[1:2]
	v_mov_b32_e32 v1, v14
	v_mad_u64_u32 v[14:15], s[10:11], s25, v8, v[1:2]
	v_add_u16_e32 v15, 0x1d4, v0
	v_add_co_u32_e32 v9, vcc, v16, v9
	v_mul_u32_u24_e32 v16, 0x184, v15
	v_lshrrev_b32_e32 v34, 16, v16
	v_mul_lo_u16_e32 v16, 0xa9, v34
	v_sub_u16_e32 v35, v15, v16
	v_mul_lo_u32 v1, s26, v7
	v_mad_u64_u32 v[15:16], s[10:11], s24, v35, 0
	v_lshlrev_b64 v[13:14], 2, v[13:14]
	v_addc_co_u32_e32 v10, vcc, v17, v10, vcc
	v_mov_b32_e32 v17, s5
	v_add_co_u32_e32 v18, vcc, s4, v13
	v_addc_co_u32_e32 v19, vcc, v17, v14, vcc
	v_lshlrev_b64 v[13:14], 2, v[1:2]
	v_mov_b32_e32 v1, v16
	v_mad_u64_u32 v[16:17], s[10:11], s25, v35, v[1:2]
	v_add_u16_e32 v17, 0x270, v0
	v_add_co_u32_e32 v13, vcc, v18, v13
	v_mul_u32_u24_e32 v18, 0x184, v17
	v_lshrrev_b32_e32 v36, 16, v18
	v_mul_lo_u16_e32 v18, 0xa9, v36
	v_sub_u16_e32 v37, v17, v18
	v_mul_lo_u32 v1, s26, v34
	v_mad_u64_u32 v[17:18], s[10:11], s24, v37, 0
	v_lshlrev_b64 v[15:16], 2, v[15:16]
	v_addc_co_u32_e32 v14, vcc, v19, v14, vcc
	;; [unrolled: 16-line block ×9, first 2 shown]
	v_mov_b32_e32 v33, s5
	v_add_co_u32_e32 v52, vcc, s4, v29
	v_addc_co_u32_e32 v53, vcc, v33, v30, vcc
	v_lshlrev_b64 v[29:30], 2, v[1:2]
	v_mov_b32_e32 v1, v32
	v_mad_u64_u32 v[32:33], s[10:11], s25, v51, v[1:2]
	v_add_co_u32_e32 v29, vcc, v52, v29
	v_lshlrev_b64 v[31:32], 2, v[31:32]
	v_add_u16_e32 v52, 0x750, v0
	v_addc_co_u32_e32 v30, vcc, v53, v30, vcc
	v_mul_u32_u24_e32 v53, 0xc1f, v52
	v_mov_b32_e32 v33, s5
	global_load_dword v54, v[11:12], off
	v_lshrrev_b32_e32 v53, 19, v53
	v_add_co_u32_e32 v31, vcc, s4, v31
	v_addc_co_u32_e32 v32, vcc, v33, v32, vcc
	global_load_dword v33, v[13:14], off
	v_mul_lo_u32 v1, s26, v50
	global_load_dword v15, v[15:16], off
	s_movk_i32 s6, 0x388b
	global_load_dword v55, v[9:10], off
	v_mul_lo_u16_e32 v11, 0xa9, v53
	v_sub_u16_e32 v52, v52, v11
	v_mad_u64_u32 v[9:10], s[10:11], s24, v52, 0
	v_lshlrev_b64 v[11:12], 2, v[1:2]
	s_mov_b32 s12, 0xbbc4
	v_mov_b32_e32 v1, v10
	v_mad_u64_u32 v[13:14], s[10:11], s25, v52, v[1:2]
	global_load_dword v14, v[17:18], off
	global_load_dword v16, v[19:20], off
	v_mul_lo_u32 v1, s26, v53
	v_mov_b32_e32 v10, v13
	global_load_dword v13, v[21:22], off
	global_load_dword v18, v[23:24], off
	v_add_co_u32_e32 v11, vcc, v31, v11
	v_lshlrev_b64 v[9:10], 2, v[9:10]
	global_load_dword v19, v[25:26], off
	global_load_dword v20, v[27:28], off
	v_addc_co_u32_e32 v12, vcc, v32, v12, vcc
	v_mov_b32_e32 v17, s5
	v_add_co_u32_e32 v21, vcc, s4, v9
	v_addc_co_u32_e32 v17, vcc, v17, v10, vcc
	v_lshlrev_b64 v[9:10], 2, v[1:2]
	global_load_dword v22, v[29:30], off
	global_load_dword v23, v[11:12], off
	v_add_co_u32_e32 v9, vcc, v21, v9
	v_addc_co_u32_e32 v10, vcc, v17, v10, vcc
	global_load_dword v9, v[9:10], off
	v_mul_lo_u16_e32 v1, 12, v4
	v_or_b32_e32 v1, v1, v3
	v_and_b32_e32 v1, 0xffff, v1
	v_lshl_add_u32 v1, v1, 2, 0
	v_mad_legacy_u16 v3, v8, 12, v7
	v_lshl_add_u32 v3, v3, 2, 0
	s_movk_i32 s10, 0x3b15
	s_movk_i32 s4, 0x2fb7
	s_mov_b32 s5, 0xb5ac
	s_mov_b32 s11, 0xb9fd
	s_movk_i32 s13, 0x240
	s_mul_i32 s0, s0, s7
	s_movk_i32 s7, 0xa9
	s_lshl_b64 s[2:3], s[2:3], 2
	s_add_u32 s2, s22, s2
	s_addc_u32 s3, s23, s3
	s_lshl_b64 s[0:1], s[0:1], 2
	s_add_u32 s0, s0, s2
	s_addc_u32 s1, s1, s3
	s_waitcnt vmcnt(12)
	ds_write_b32 v1, v54
	v_mul_lo_u16_e32 v1, 12, v6
	v_or_b32_e32 v1, v1, v5
	v_and_b32_e32 v1, 0xffff, v1
	v_lshl_add_u32 v1, v1, 2, 0
	s_waitcnt vmcnt(9)
	ds_write_b32 v1, v55
	ds_write_b32 v3, v33
	v_mad_legacy_u16 v3, v35, 12, v34
	v_lshl_add_u32 v3, v3, 2, 0
	ds_write_b32 v3, v15
	v_mad_legacy_u16 v3, v37, 12, v36
	v_lshl_add_u32 v3, v3, 2, 0
	v_mul_u32_u24_e32 v1, 0x1556, v0
	v_lshrrev_b32_e32 v17, 16, v1
	s_waitcnt vmcnt(8)
	ds_write_b32 v3, v14
	v_mad_legacy_u16 v3, v39, 12, v38
	v_lshl_add_u32 v3, v3, 2, 0
	s_waitcnt vmcnt(7)
	ds_write_b32 v3, v16
	v_mad_legacy_u16 v3, v41, 12, v40
	v_lshl_add_u32 v3, v3, 2, 0
	;; [unrolled: 4-line block ×7, first 2 shown]
	v_mul_lo_u16_e32 v1, 12, v17
	s_waitcnt vmcnt(1)
	ds_write_b32 v3, v23
	v_mad_legacy_u16 v3, v52, 12, v53
	v_sub_u16_e32 v1, v0, v1
	v_lshl_add_u32 v3, v3, 2, 0
	s_waitcnt vmcnt(0)
	ds_write_b32 v3, v9
	v_mul_u32_u24_e32 v3, 48, v17
	v_lshlrev_b32_e32 v4, 2, v1
	v_add3_u32 v11, 0, v3, v4
	s_waitcnt lgkmcnt(0)
	s_barrier
	ds_read2_b32 v[5:6], v11 offset1:156
	v_add_u32_e32 v13, 0x400, v11
	ds_read2_b32 v[27:28], v13 offset0:56 offset1:212
	v_add_u32_e32 v14, 0x900, v11
	ds_read2_b32 v[7:8], v14 offset0:48 offset1:204
	v_add_u32_e32 v15, 0xe00, v11
	ds_read2_b32 v[3:4], v15 offset0:40 offset1:196
	s_waitcnt lgkmcnt(3)
	v_add_f16_e32 v19, v6, v5
	v_add_f16_sdwa v20, v6, v5 dst_sel:DWORD dst_unused:UNUSED_PAD src0_sel:WORD_1 src1_sel:WORD_1
	v_add_u32_e32 v16, 0x1200, v11
	s_waitcnt lgkmcnt(2)
	v_add_f16_e32 v19, v19, v27
	v_add_f16_sdwa v20, v20, v27 dst_sel:DWORD dst_unused:UNUSED_PAD src0_sel:DWORD src1_sel:WORD_1
	ds_read2_b32 v[9:10], v16 offset0:96 offset1:252
	v_add_f16_e32 v19, v19, v28
	v_add_f16_sdwa v20, v20, v28 dst_sel:DWORD dst_unused:UNUSED_PAD src0_sel:DWORD src1_sel:WORD_1
	v_add_u32_e32 v12, 0x1800, v11
	s_waitcnt lgkmcnt(2)
	v_add_f16_e32 v19, v19, v7
	v_add_f16_sdwa v20, v20, v7 dst_sel:DWORD dst_unused:UNUSED_PAD src0_sel:DWORD src1_sel:WORD_1
	ds_read2_b32 v[29:30], v12 offset0:24 offset1:180
	ds_read_b32 v18, v11 offset:7488
	v_add_f16_e32 v19, v19, v8
	v_add_f16_sdwa v20, v20, v8 dst_sel:DWORD dst_unused:UNUSED_PAD src0_sel:DWORD src1_sel:WORD_1
	s_waitcnt lgkmcnt(3)
	v_add_f16_e32 v19, v19, v3
	v_add_f16_sdwa v20, v20, v3 dst_sel:DWORD dst_unused:UNUSED_PAD src0_sel:DWORD src1_sel:WORD_1
	v_add_f16_e32 v19, v19, v4
	v_add_f16_sdwa v20, v20, v4 dst_sel:DWORD dst_unused:UNUSED_PAD src0_sel:DWORD src1_sel:WORD_1
	s_waitcnt lgkmcnt(2)
	v_add_f16_e32 v19, v19, v9
	v_add_f16_sdwa v20, v20, v9 dst_sel:DWORD dst_unused:UNUSED_PAD src0_sel:DWORD src1_sel:WORD_1
	;; [unrolled: 5-line block ×3, first 2 shown]
	s_waitcnt lgkmcnt(0)
	v_sub_f16_sdwa v34, v6, v18 dst_sel:DWORD dst_unused:UNUSED_PAD src0_sel:WORD_1 src1_sel:WORD_1
	v_add_f16_e32 v19, v19, v30
	v_add_f16_sdwa v20, v20, v30 dst_sel:DWORD dst_unused:UNUSED_PAD src0_sel:DWORD src1_sel:WORD_1
	v_add_f16_e32 v22, v30, v27
	v_add_f16_sdwa v21, v30, v27 dst_sel:DWORD dst_unused:UNUSED_PAD src0_sel:WORD_1 src1_sel:WORD_1
	v_sub_f16_e32 v25, v27, v30
	v_sub_f16_sdwa v26, v27, v30 dst_sel:DWORD dst_unused:UNUSED_PAD src0_sel:WORD_1 src1_sel:WORD_1
	v_add_f16_e32 v24, v29, v28
	v_add_f16_sdwa v23, v29, v28 dst_sel:DWORD dst_unused:UNUSED_PAD src0_sel:WORD_1 src1_sel:WORD_1
	v_sub_f16_e32 v27, v28, v29
	v_sub_f16_sdwa v28, v28, v29 dst_sel:DWORD dst_unused:UNUSED_PAD src0_sel:WORD_1 src1_sel:WORD_1
	v_add_f16_e32 v29, v10, v7
	v_add_f16_sdwa v30, v10, v7 dst_sel:DWORD dst_unused:UNUSED_PAD src0_sel:WORD_1 src1_sel:WORD_1
	v_sub_f16_e32 v31, v7, v10
	v_sub_f16_sdwa v7, v7, v10 dst_sel:DWORD dst_unused:UNUSED_PAD src0_sel:WORD_1 src1_sel:WORD_1
	v_add_f16_e32 v10, v9, v8
	v_add_f16_sdwa v32, v9, v8 dst_sel:DWORD dst_unused:UNUSED_PAD src0_sel:WORD_1 src1_sel:WORD_1
	v_sub_f16_e32 v33, v8, v9
	v_sub_f16_sdwa v8, v8, v9 dst_sel:DWORD dst_unused:UNUSED_PAD src0_sel:WORD_1 src1_sel:WORD_1
	v_add_f16_e32 v9, v18, v6
	v_mul_f16_e32 v35, 0xb770, v34
	v_mul_f16_e32 v37, 0xba95, v34
	v_mul_f16_e32 v39, 0xbbf1, v34
	v_mul_f16_e32 v41, 0xbb7b, v34
	v_mul_f16_e32 v43, 0xb94e, v34
	v_mul_f16_e32 v34, 0xb3a8, v34
	v_fma_f16 v36, v9, s10, -v35
	v_fma_f16 v35, v9, s10, v35
	v_fma_f16 v38, v9, s6, -v37
	v_fma_f16 v37, v9, s6, v37
	;; [unrolled: 2-line block ×6, first 2 shown]
	v_add_f16_sdwa v34, v18, v6 dst_sel:DWORD dst_unused:UNUSED_PAD src0_sel:WORD_1 src1_sel:WORD_1
	v_sub_f16_e32 v6, v6, v18
	v_mul_f16_e32 v46, 0xb770, v6
	v_mul_f16_e32 v48, 0xba95, v6
	;; [unrolled: 1-line block ×6, first 2 shown]
	v_fma_f16 v47, v34, s10, v46
	v_fma_f16 v46, v34, s10, -v46
	v_fma_f16 v49, v34, s6, v48
	v_fma_f16 v48, v34, s6, -v48
	;; [unrolled: 2-line block ×6, first 2 shown]
	v_add_f16_e32 v34, v36, v5
	v_add_f16_sdwa v36, v47, v5 dst_sel:DWORD dst_unused:UNUSED_PAD src0_sel:DWORD src1_sel:WORD_1
	v_add_f16_e32 v35, v35, v5
	v_add_f16_sdwa v46, v46, v5 dst_sel:DWORD dst_unused:UNUSED_PAD src0_sel:DWORD src1_sel:WORD_1
	;; [unrolled: 2-line block ×12, first 2 shown]
	v_add_f16_e32 v5, v19, v18
	v_add_f16_sdwa v18, v20, v18 dst_sel:WORD_1 dst_unused:UNUSED_PAD src0_sel:DWORD src1_sel:WORD_1
	v_or_b32_e32 v5, v18, v5
	v_mul_f16_e32 v18, 0xba95, v26
	v_fma_f16 v19, v22, s6, -v18
	v_mul_f16_e32 v20, 0xba95, v25
	v_fma_f16 v18, v22, s6, v18
	v_add_f16_e32 v19, v19, v34
	v_fma_f16 v34, v21, s6, v20
	v_add_f16_e32 v18, v18, v35
	v_mul_f16_e32 v35, 0xbb7b, v26
	v_add_f16_e32 v34, v34, v36
	v_fma_f16 v36, v22, s5, -v35
	v_fma_f16 v20, v21, s6, -v20
	v_add_f16_e32 v36, v36, v38
	v_mul_f16_e32 v38, 0xbb7b, v25
	v_fma_f16 v35, v22, s5, v35
	v_add_f16_e32 v20, v20, v46
	v_fma_f16 v46, v21, s5, v38
	v_add_f16_e32 v35, v35, v37
	v_fma_f16 v37, v21, s5, -v38
	v_mul_f16_e32 v38, 0xb3a8, v26
	v_add_f16_e32 v46, v46, v47
	v_fma_f16 v47, v22, s12, -v38
	v_add_f16_e32 v40, v47, v40
	v_mul_f16_e32 v47, 0xb3a8, v25
	v_fma_f16 v38, v22, s12, v38
	v_add_f16_e32 v37, v37, v48
	v_fma_f16 v48, v21, s12, v47
	v_add_f16_e32 v38, v38, v39
	v_fma_f16 v39, v21, s12, -v47
	v_mul_f16_e32 v47, 0x394e, v26
	v_add_f16_e32 v48, v48, v49
	;; [unrolled: 10-line block ×3, first 2 shown]
	v_fma_f16 v51, v22, s4, -v49
	v_add_f16_e32 v44, v51, v44
	v_mul_f16_e32 v51, 0x3bf1, v25
	v_fma_f16 v49, v22, s4, v49
	v_mul_f16_e32 v26, 0x3770, v26
	v_add_f16_e32 v47, v47, v52
	v_fma_f16 v52, v21, s4, v51
	v_add_f16_e32 v43, v49, v43
	v_fma_f16 v49, v21, s4, -v51
	v_fma_f16 v51, v22, s10, -v26
	v_mul_f16_e32 v25, 0x3770, v25
	v_add_f16_e32 v45, v51, v45
	v_fma_f16 v51, v21, s10, v25
	v_fma_f16 v21, v21, s10, -v25
	v_fma_f16 v22, v22, s10, v26
	v_add_f16_e32 v6, v21, v6
	v_mul_f16_e32 v21, 0xbbf1, v28
	v_add_f16_e32 v9, v22, v9
	v_fma_f16 v22, v24, s4, -v21
	v_add_f16_e32 v19, v22, v19
	v_mul_f16_e32 v22, 0xbbf1, v27
	v_fma_f16 v21, v24, s4, v21
	v_add_f16_e32 v18, v21, v18
	v_fma_f16 v21, v23, s4, -v22
	v_add_f16_e32 v20, v21, v20
	v_mul_f16_e32 v21, 0xb3a8, v28
	v_fma_f16 v25, v23, s4, v22
	v_fma_f16 v22, v24, s12, -v21
	v_mul_f16_e32 v26, 0xb3a8, v27
	v_fma_f16 v21, v24, s12, v21
	v_add_f16_e32 v25, v25, v34
	v_fma_f16 v34, v23, s12, v26
	v_add_f16_e32 v21, v21, v35
	v_fma_f16 v26, v23, s12, -v26
	v_mul_f16_e32 v35, 0x3b7b, v28
	v_add_f16_e32 v22, v22, v36
	v_add_f16_e32 v26, v26, v37
	v_fma_f16 v36, v24, s5, -v35
	v_mul_f16_e32 v37, 0x3b7b, v27
	v_fma_f16 v35, v24, s5, v35
	v_add_f16_e32 v36, v36, v40
	v_fma_f16 v40, v23, s5, v37
	v_add_f16_e32 v35, v35, v38
	v_fma_f16 v37, v23, s5, -v37
	v_mul_f16_e32 v38, 0x3770, v28
	v_add_f16_e32 v37, v37, v39
	v_fma_f16 v39, v24, s10, -v38
	v_add_f16_e32 v39, v39, v42
	v_mul_f16_e32 v42, 0x3770, v27
	v_fma_f16 v38, v24, s10, v38
	v_add_f16_e32 v34, v34, v46
	v_fma_f16 v46, v23, s10, v42
	v_add_f16_e32 v38, v38, v41
	v_fma_f16 v41, v23, s10, -v42
	v_mul_f16_e32 v42, 0xba95, v28
	v_add_f16_e32 v41, v41, v47
	v_fma_f16 v47, v24, s6, -v42
	v_add_f16_e32 v44, v47, v44
	v_mul_f16_e32 v47, 0xba95, v27
	v_fma_f16 v42, v24, s6, v42
	v_mul_f16_e32 v28, 0xb94e, v28
	v_add_f16_e32 v40, v40, v48
	v_fma_f16 v48, v23, s6, v47
	v_add_f16_e32 v42, v42, v43
	v_fma_f16 v43, v23, s6, -v47
	v_fma_f16 v47, v24, s11, -v28
	v_mul_f16_e32 v27, 0xb94e, v27
	v_add_f16_e32 v45, v47, v45
	v_fma_f16 v47, v23, s11, v27
	v_fma_f16 v23, v23, s11, -v27
	v_fma_f16 v24, v24, s11, v28
	v_add_f16_e32 v6, v23, v6
	v_mul_f16_e32 v23, 0xbb7b, v7
	v_add_f16_e32 v9, v24, v9
	v_fma_f16 v24, v29, s5, -v23
	v_add_f16_e32 v19, v24, v19
	v_mul_f16_e32 v24, 0xbb7b, v31
	v_fma_f16 v23, v29, s5, v23
	v_add_f16_e32 v18, v23, v18
	v_fma_f16 v23, v30, s5, -v24
	v_add_f16_e32 v20, v23, v20
	v_mul_f16_e32 v23, 0x394e, v7
	v_fma_f16 v27, v30, s5, v24
	v_fma_f16 v24, v29, s11, -v23
	v_add_f16_e32 v22, v24, v22
	v_mul_f16_e32 v24, 0x394e, v31
	v_fma_f16 v23, v29, s11, v23
	v_add_f16_e32 v25, v27, v25
	v_fma_f16 v27, v30, s11, v24
	v_add_f16_e32 v21, v23, v21
	v_fma_f16 v23, v30, s11, -v24
	v_mul_f16_e32 v24, 0x3770, v7
	v_add_f16_e32 v23, v23, v26
	v_fma_f16 v26, v29, s10, -v24
	v_fma_f16 v24, v29, s10, v24
	v_mul_f16_e32 v28, 0x3770, v31
	v_add_f16_e32 v24, v24, v35
	v_mul_f16_e32 v35, 0xbbf1, v7
	v_add_f16_e32 v27, v27, v34
	v_add_f16_e32 v26, v26, v36
	v_fma_f16 v34, v30, s10, v28
	v_fma_f16 v28, v30, s10, -v28
	v_fma_f16 v36, v29, s4, -v35
	v_fma_f16 v35, v29, s4, v35
	v_add_f16_e32 v28, v28, v37
	v_mul_f16_e32 v37, 0xbbf1, v31
	v_add_f16_e32 v35, v35, v38
	v_mul_f16_e32 v38, 0x33a8, v7
	v_add_f16_e32 v34, v34, v40
	v_add_f16_e32 v36, v36, v39
	v_fma_f16 v39, v30, s4, v37
	v_fma_f16 v37, v30, s4, -v37
	v_fma_f16 v40, v29, s12, -v38
	v_fma_f16 v38, v29, s12, v38
	v_mul_f16_e32 v7, 0x3a95, v7
	v_add_f16_e32 v37, v37, v41
	v_mul_f16_e32 v41, 0x33a8, v31
	v_add_f16_e32 v38, v38, v42
	v_fma_f16 v42, v29, s6, -v7
	v_mul_f16_e32 v31, 0x3a95, v31
	v_fma_f16 v7, v29, s6, v7
	v_add_f16_e32 v7, v7, v9
	v_fma_f16 v9, v30, s6, -v31
	v_add_f16_e32 v6, v9, v6
	v_mul_f16_e32 v9, 0xb94e, v8
	v_fma_f16 v29, v10, s11, -v9
	v_add_f16_e32 v19, v29, v19
	v_mul_f16_e32 v29, 0xb94e, v33
	v_fma_f16 v9, v10, s11, v9
	v_add_f16_e32 v49, v49, v54
	v_add_f16_e32 v9, v9, v18
	v_fma_f16 v18, v32, s11, -v29
	v_add_f16_e32 v43, v43, v49
	v_add_f16_e32 v40, v40, v44
	v_fma_f16 v44, v30, s12, v41
	v_fma_f16 v41, v30, s12, -v41
	v_add_f16_e32 v18, v18, v20
	v_mul_f16_e32 v20, 0x3bf1, v8
	v_add_f16_e32 v41, v41, v43
	v_fma_f16 v43, v30, s6, v31
	v_fma_f16 v30, v32, s11, v29
	v_fma_f16 v29, v10, s4, -v20
	v_add_f16_e32 v22, v29, v22
	v_mul_f16_e32 v29, 0x3bf1, v33
	v_fma_f16 v20, v10, s4, v20
	v_add_f16_e32 v20, v20, v21
	v_fma_f16 v21, v32, s4, -v29
	v_add_f16_e32 v21, v21, v23
	v_mul_f16_e32 v23, 0xba95, v8
	v_add_f16_e32 v25, v30, v25
	v_fma_f16 v30, v32, s4, v29
	v_fma_f16 v29, v10, s6, -v23
	v_add_f16_e32 v26, v29, v26
	v_mul_f16_e32 v29, 0xba95, v33
	v_fma_f16 v23, v10, s6, v23
	v_add_f16_e32 v23, v23, v24
	v_fma_f16 v24, v32, s6, -v29
	v_add_f16_e32 v24, v24, v28
	v_mul_f16_e32 v28, 0x33a8, v8
	v_add_f16_e32 v27, v30, v27
	v_fma_f16 v30, v32, s6, v29
	v_fma_f16 v29, v10, s12, -v28
	v_fma_f16 v28, v10, s12, v28
	v_mul_f16_e32 v31, 0x33a8, v33
	v_add_f16_e32 v28, v28, v35
	v_mul_f16_e32 v35, 0x3770, v8
	v_add_f16_e32 v30, v30, v34
	v_add_f16_e32 v29, v29, v36
	v_fma_f16 v34, v32, s12, v31
	v_fma_f16 v31, v32, s12, -v31
	v_fma_f16 v36, v10, s10, -v35
	v_fma_f16 v35, v10, s10, v35
	v_mul_f16_e32 v8, 0xbb7b, v8
	v_add_f16_e32 v46, v46, v50
	v_add_f16_e32 v31, v31, v37
	v_mul_f16_e32 v37, 0x3770, v33
	v_add_f16_e32 v35, v35, v38
	v_fma_f16 v38, v10, s5, -v8
	v_mul_f16_e32 v33, 0xbb7b, v33
	v_fma_f16 v8, v10, s5, v8
	v_add_f16_e32 v39, v39, v46
	v_add_f16_e32 v7, v8, v7
	v_fma_f16 v8, v32, s5, -v33
	v_add_f16_e32 v34, v34, v39
	v_add_f16_e32 v36, v36, v40
	v_fma_f16 v39, v32, s10, v37
	v_fma_f16 v37, v32, s10, -v37
	v_fma_f16 v40, v32, s5, v33
	v_add_f16_e32 v6, v8, v6
	v_add_f16_e32 v8, v4, v3
	v_add_f16_sdwa v10, v4, v3 dst_sel:DWORD dst_unused:UNUSED_PAD src0_sel:WORD_1 src1_sel:WORD_1
	v_sub_f16_e32 v32, v3, v4
	v_sub_f16_sdwa v3, v3, v4 dst_sel:DWORD dst_unused:UNUSED_PAD src0_sel:WORD_1 src1_sel:WORD_1
	v_mul_f16_e32 v4, 0xb3a8, v3
	v_fma_f16 v33, v8, s12, -v4
	v_add_f16_e32 v19, v33, v19
	v_mul_f16_e32 v33, 0xb3a8, v32
	v_fma_f16 v4, v8, s12, v4
	v_add_f16_e32 v4, v4, v9
	v_fma_f16 v9, v10, s12, -v33
	v_add_f16_e32 v9, v9, v18
	v_mul_f16_e32 v18, 0x3770, v3
	v_add_f16_e32 v37, v37, v41
	v_fma_f16 v41, v10, s12, v33
	v_fma_f16 v33, v8, s10, -v18
	v_add_f16_e32 v22, v33, v22
	v_mul_f16_e32 v33, 0x3770, v32
	v_fma_f16 v18, v8, s10, v18
	v_add_f16_e32 v18, v18, v20
	v_fma_f16 v20, v10, s10, -v33
	v_add_f16_e32 v20, v20, v21
	v_mul_f16_e32 v21, 0xb94e, v3
	v_add_f16_e32 v25, v41, v25
	v_fma_f16 v41, v10, s10, v33
	;; [unrolled: 10-line block ×4, first 2 shown]
	v_fma_f16 v33, v8, s5, -v31
	v_add_f16_e32 v52, v52, v53
	v_add_f16_e32 v33, v33, v36
	v_mul_f16_e32 v36, 0xbb7b, v32
	v_fma_f16 v31, v8, s5, v31
	v_mul_f16_e32 v3, 0x3bf1, v3
	v_add_f16_e32 v51, v51, v55
	v_add_f16_e32 v48, v48, v52
	;; [unrolled: 1-line block ×3, first 2 shown]
	v_fma_f16 v41, v10, s5, v36
	v_add_f16_e32 v31, v31, v35
	v_fma_f16 v35, v10, s5, -v36
	v_fma_f16 v36, v8, s4, -v3
	v_mul_f16_e32 v32, 0x3bf1, v32
	v_fma_f16 v3, v8, s4, v3
	v_add_f16_e32 v47, v47, v51
	v_add_f16_e32 v44, v44, v48
	;; [unrolled: 1-line block ×3, first 2 shown]
	v_fma_f16 v7, v10, s4, -v32
	v_add_f16_e32 v42, v42, v45
	v_add_f16_e32 v43, v43, v47
	;; [unrolled: 1-line block ×4, first 2 shown]
	v_mad_u32_u24 v7, v17, s13, v11
	v_pack_b32_f16 v8, v19, v25
	v_add_f16_e32 v38, v38, v42
	v_add_f16_e32 v40, v40, v43
	;; [unrolled: 1-line block ×4, first 2 shown]
	v_fma_f16 v37, v10, s4, v32
	s_barrier
	ds_write2_b32 v7, v5, v8 offset1:12
	v_pack_b32_f16 v5, v22, v27
	v_pack_b32_f16 v8, v26, v30
	v_add_f16_e32 v36, v36, v38
	v_add_f16_e32 v37, v37, v40
	ds_write2_b32 v7, v5, v8 offset0:24 offset1:36
	v_pack_b32_f16 v5, v29, v34
	v_pack_b32_f16 v8, v33, v39
	ds_write2_b32 v7, v5, v8 offset0:48 offset1:60
	v_pack_b32_f16 v5, v36, v37
	v_pack_b32_f16 v3, v3, v6
	;; [unrolled: 3-line block ×4, first 2 shown]
	ds_write2_b32 v7, v3, v5 offset0:120 offset1:132
	v_pack_b32_f16 v3, v4, v9
	ds_write_b32 v7, v3 offset:576
	v_mul_lo_u16_e32 v3, 20, v17
	v_mov_b32_e32 v4, 13
	v_mul_lo_u16_sdwa v3, v3, v4 dst_sel:DWORD dst_unused:UNUSED_PAD src0_sel:BYTE_1 src1_sel:DWORD
	v_sub_u16_e32 v3, v17, v3
	v_mov_b32_e32 v4, 12
	v_mul_u32_u24_sdwa v4, v3, v4 dst_sel:DWORD dst_unused:UNUSED_PAD src0_sel:BYTE_0 src1_sel:DWORD
	v_lshlrev_b32_e32 v8, 2, v4
	s_waitcnt lgkmcnt(0)
	s_barrier
	global_load_dwordx4 v[4:7], v8, s[8:9]
	global_load_dwordx4 v[17:20], v8, s[8:9] offset:16
	global_load_dwordx4 v[21:24], v8, s[8:9] offset:32
	ds_read2_b32 v[8:9], v14 offset0:48 offset1:204
	ds_read2_b32 v[14:15], v15 offset0:40 offset1:196
	ds_read2_b32 v[25:26], v11 offset1:156
	ds_read2_b32 v[27:28], v13 offset0:56 offset1:212
	ds_read_u16 v34, v11 offset:2498
	ds_read2_b32 v[29:30], v16 offset0:96 offset1:252
	s_waitcnt lgkmcnt(5)
	v_lshrrev_b32_e32 v10, 16, v9
	s_waitcnt lgkmcnt(3)
	v_lshrrev_b32_e32 v16, 16, v26
	;; [unrolled: 2-line block ×3, first 2 shown]
	v_lshrrev_b32_e32 v13, 16, v14
	ds_read_b32 v11, v11 offset:7488
	v_mul_u32_u24_e32 v0, 0x1a5, v0
	v_mul_lo_u16_sdwa v0, v0, s7 dst_sel:DWORD dst_unused:UNUSED_PAD src0_sel:WORD_1 src1_sel:DWORD
	v_add_u32_sdwa v0, v3, v0 dst_sel:DWORD dst_unused:UNUSED_PAD src0_sel:BYTE_0 src1_sel:DWORD
	v_mov_b32_e32 v3, s1
	s_waitcnt vmcnt(2)
	v_mul_f16_sdwa v33, v4, v26 dst_sel:DWORD dst_unused:UNUSED_PAD src0_sel:WORD_1 src1_sel:DWORD
	v_fma_f16 v33, v4, v16, v33
	v_mul_f16_sdwa v16, v4, v16 dst_sel:DWORD dst_unused:UNUSED_PAD src0_sel:WORD_1 src1_sel:DWORD
	v_fma_f16 v16, v4, v26, -v16
	v_mul_f16_sdwa v4, v7, v8 dst_sel:DWORD dst_unused:UNUSED_PAD src0_sel:WORD_1 src1_sel:DWORD
	s_waitcnt lgkmcnt(2)
	v_fma_f16 v26, v34, v7, v4
	v_mul_f16_sdwa v4, v34, v7 dst_sel:DWORD dst_unused:UNUSED_PAD src0_sel:DWORD src1_sel:WORD_1
	v_mul_f16_sdwa v32, v5, v31 dst_sel:DWORD dst_unused:UNUSED_PAD src0_sel:WORD_1 src1_sel:DWORD
	v_fma_f16 v7, v7, v8, -v4
	s_waitcnt vmcnt(1)
	v_mul_f16_sdwa v4, v10, v17 dst_sel:DWORD dst_unused:UNUSED_PAD src0_sel:DWORD src1_sel:WORD_1
	v_fma_f16 v32, v5, v27, -v32
	v_mul_f16_sdwa v27, v5, v27 dst_sel:DWORD dst_unused:UNUSED_PAD src0_sel:WORD_1 src1_sel:DWORD
	v_fma_f16 v35, v9, v17, -v4
	v_mul_f16_sdwa v4, v9, v17 dst_sel:DWORD dst_unused:UNUSED_PAD src0_sel:DWORD src1_sel:WORD_1
	v_fma_f16 v27, v5, v31, v27
	v_lshrrev_b32_e32 v5, 16, v28
	v_fma_f16 v9, v10, v17, v4
	v_mul_f16_sdwa v4, v13, v18 dst_sel:DWORD dst_unused:UNUSED_PAD src0_sel:DWORD src1_sel:WORD_1
	v_mul_f16_sdwa v31, v6, v5 dst_sel:DWORD dst_unused:UNUSED_PAD src0_sel:WORD_1 src1_sel:DWORD
	v_lshrrev_b32_e32 v8, 16, v15
	v_fma_f16 v10, v14, v18, -v4
	v_mul_f16_sdwa v4, v14, v18 dst_sel:DWORD dst_unused:UNUSED_PAD src0_sel:DWORD src1_sel:WORD_1
	v_fma_f16 v31, v6, v28, -v31
	v_mul_f16_sdwa v28, v6, v28 dst_sel:DWORD dst_unused:UNUSED_PAD src0_sel:WORD_1 src1_sel:DWORD
	v_fma_f16 v13, v13, v18, v4
	v_mul_f16_sdwa v4, v8, v19 dst_sel:DWORD dst_unused:UNUSED_PAD src0_sel:DWORD src1_sel:WORD_1
	v_fma_f16 v6, v6, v5, v28
	v_fma_f16 v14, v15, v19, -v4
	ds_read2_b32 v[4:5], v12 offset0:24 offset1:180
	s_waitcnt lgkmcnt(2)
	v_lshrrev_b32_e32 v28, 16, v29
	v_mul_f16_sdwa v15, v15, v19 dst_sel:DWORD dst_unused:UNUSED_PAD src0_sel:DWORD src1_sel:WORD_1
	v_lshrrev_b32_e32 v34, 16, v30
	v_fma_f16 v8, v8, v19, v15
	v_mul_f16_sdwa v12, v29, v20 dst_sel:DWORD dst_unused:UNUSED_PAD src0_sel:DWORD src1_sel:WORD_1
	v_mul_f16_sdwa v15, v28, v20 dst_sel:DWORD dst_unused:UNUSED_PAD src0_sel:DWORD src1_sel:WORD_1
	v_fma_f16 v12, v28, v20, v12
	v_fma_f16 v17, v29, v20, -v15
	s_waitcnt lgkmcnt(0)
	v_lshrrev_b32_e32 v15, 16, v4
	s_waitcnt vmcnt(0)
	v_mul_f16_sdwa v20, v34, v21 dst_sel:DWORD dst_unused:UNUSED_PAD src0_sel:DWORD src1_sel:WORD_1
	v_mul_f16_sdwa v28, v30, v21 dst_sel:DWORD dst_unused:UNUSED_PAD src0_sel:DWORD src1_sel:WORD_1
	v_fma_f16 v20, v30, v21, -v20
	v_fma_f16 v21, v34, v21, v28
	v_mul_f16_sdwa v28, v15, v22 dst_sel:DWORD dst_unused:UNUSED_PAD src0_sel:DWORD src1_sel:WORD_1
	v_lshrrev_b32_e32 v18, 16, v5
	v_fma_f16 v28, v4, v22, -v28
	v_mul_f16_sdwa v4, v4, v22 dst_sel:DWORD dst_unused:UNUSED_PAD src0_sel:DWORD src1_sel:WORD_1
	v_lshrrev_b32_e32 v19, 16, v11
	v_fma_f16 v4, v15, v22, v4
	v_mul_f16_sdwa v15, v18, v23 dst_sel:DWORD dst_unused:UNUSED_PAD src0_sel:DWORD src1_sel:WORD_1
	v_fma_f16 v22, v5, v23, -v15
	v_mul_f16_sdwa v15, v19, v24 dst_sel:DWORD dst_unused:UNUSED_PAD src0_sel:DWORD src1_sel:WORD_1
	v_mul_f16_sdwa v5, v5, v23 dst_sel:DWORD dst_unused:UNUSED_PAD src0_sel:DWORD src1_sel:WORD_1
	v_fma_f16 v15, v11, v24, -v15
	v_fma_f16 v5, v18, v23, v5
	v_add_f16_e32 v18, v16, v15
	v_sub_f16_e32 v42, v16, v15
	v_add_f16_e32 v16, v16, v25
	v_add_f16_e32 v16, v16, v32
	;; [unrolled: 1-line block ×6, first 2 shown]
	v_mul_f16_sdwa v11, v11, v24 dst_sel:DWORD dst_unused:UNUSED_PAD src0_sel:DWORD src1_sel:WORD_1
	v_add_f16_e32 v16, v16, v14
	v_fma_f16 v11, v19, v24, v11
	v_add_f16_e32 v16, v16, v17
	v_sub_f16_e32 v19, v33, v11
	v_add_f16_e32 v16, v16, v20
	v_mul_f16_e32 v23, 0xb770, v19
	v_mul_f16_e32 v29, 0xba95, v19
	;; [unrolled: 1-line block ×6, first 2 shown]
	v_add_f16_e32 v16, v16, v28
	v_fma_f16 v24, v18, s10, -v23
	v_fma_f16 v23, v18, s10, v23
	v_fma_f16 v30, v18, s6, -v29
	v_fma_f16 v29, v18, s6, v29
	;; [unrolled: 2-line block ×6, first 2 shown]
	v_add_f16_e32 v19, v33, v11
	v_add_f16_sdwa v33, v33, v25 dst_sel:DWORD dst_unused:UNUSED_PAD src0_sel:DWORD src1_sel:WORD_1
	v_add_f16_e32 v16, v16, v22
	v_add_f16_e32 v15, v16, v15
	;; [unrolled: 1-line block ×12, first 2 shown]
	v_mul_f16_e32 v43, 0xb770, v42
	v_mul_f16_e32 v45, 0xba95, v42
	;; [unrolled: 1-line block ×6, first 2 shown]
	v_add_f16_sdwa v11, v16, v11 dst_sel:WORD_1 dst_unused:UNUSED_PAD src0_sel:DWORD src1_sel:DWORD
	v_fma_f16 v44, v19, s10, v43
	v_fma_f16 v43, v19, s10, -v43
	v_fma_f16 v46, v19, s6, v45
	v_fma_f16 v45, v19, s6, -v45
	;; [unrolled: 2-line block ×6, first 2 shown]
	v_or_b32_e32 v15, v11, v15
	v_add_f16_e32 v11, v32, v22
	v_sub_f16_e32 v16, v32, v22
	v_add_f16_e32 v22, v27, v5
	v_sub_f16_e32 v5, v27, v5
	v_add_f16_e32 v24, v24, v25
	v_add_f16_sdwa v42, v44, v25 dst_sel:DWORD dst_unused:UNUSED_PAD src0_sel:DWORD src1_sel:WORD_1
	v_add_f16_e32 v23, v23, v25
	v_add_f16_sdwa v43, v43, v25 dst_sel:DWORD dst_unused:UNUSED_PAD src0_sel:DWORD src1_sel:WORD_1
	v_add_f16_e32 v30, v30, v25
	v_add_f16_sdwa v44, v46, v25 dst_sel:DWORD dst_unused:UNUSED_PAD src0_sel:DWORD src1_sel:WORD_1
	v_add_f16_e32 v29, v29, v25
	v_add_f16_sdwa v45, v45, v25 dst_sel:DWORD dst_unused:UNUSED_PAD src0_sel:DWORD src1_sel:WORD_1
	v_add_f16_e32 v36, v36, v25
	v_add_f16_sdwa v46, v48, v25 dst_sel:DWORD dst_unused:UNUSED_PAD src0_sel:DWORD src1_sel:WORD_1
	v_add_f16_e32 v34, v34, v25
	v_add_f16_sdwa v47, v47, v25 dst_sel:DWORD dst_unused:UNUSED_PAD src0_sel:DWORD src1_sel:WORD_1
	v_add_f16_e32 v38, v38, v25
	v_add_f16_sdwa v48, v50, v25 dst_sel:DWORD dst_unused:UNUSED_PAD src0_sel:DWORD src1_sel:WORD_1
	v_add_f16_e32 v37, v37, v25
	v_add_f16_sdwa v49, v49, v25 dst_sel:DWORD dst_unused:UNUSED_PAD src0_sel:DWORD src1_sel:WORD_1
	v_add_f16_e32 v40, v40, v25
	v_add_f16_sdwa v50, v52, v25 dst_sel:DWORD dst_unused:UNUSED_PAD src0_sel:DWORD src1_sel:WORD_1
	v_add_f16_e32 v39, v39, v25
	v_add_f16_sdwa v51, v51, v25 dst_sel:DWORD dst_unused:UNUSED_PAD src0_sel:DWORD src1_sel:WORD_1
	v_add_f16_e32 v41, v41, v25
	v_add_f16_sdwa v52, v53, v25 dst_sel:DWORD dst_unused:UNUSED_PAD src0_sel:DWORD src1_sel:WORD_1
	v_add_f16_e32 v18, v18, v25
	v_add_f16_sdwa v19, v19, v25 dst_sel:DWORD dst_unused:UNUSED_PAD src0_sel:DWORD src1_sel:WORD_1
	v_mul_f16_e32 v25, 0xba95, v5
	v_fma_f16 v27, v11, s6, -v25
	v_add_f16_e32 v24, v27, v24
	v_mul_f16_e32 v27, 0xba95, v16
	v_fma_f16 v25, v11, s6, v25
	v_fma_f16 v32, v22, s6, v27
	v_add_f16_e32 v23, v25, v23
	v_fma_f16 v25, v22, s6, -v27
	v_mul_f16_e32 v27, 0xbb7b, v5
	v_fma_f16 v33, v11, s5, -v27
	v_add_f16_e32 v30, v33, v30
	v_mul_f16_e32 v33, 0xbb7b, v16
	v_fma_f16 v27, v11, s5, v27
	v_add_f16_e32 v32, v32, v42
	v_fma_f16 v42, v22, s5, v33
	v_add_f16_e32 v27, v27, v29
	v_fma_f16 v29, v22, s5, -v33
	v_mul_f16_e32 v33, 0xb3a8, v5
	v_add_f16_e32 v25, v25, v43
	v_fma_f16 v43, v11, s12, -v33
	v_add_f16_e32 v36, v43, v36
	v_mul_f16_e32 v43, 0xb3a8, v16
	v_fma_f16 v33, v11, s12, v33
	v_add_f16_e32 v42, v42, v44
	v_fma_f16 v44, v22, s12, v43
	v_add_f16_e32 v33, v33, v34
	v_fma_f16 v34, v22, s12, -v43
	v_mul_f16_e32 v43, 0x394e, v5
	v_add_f16_e32 v29, v29, v45
	;; [unrolled: 10-line block ×3, first 2 shown]
	v_fma_f16 v47, v11, s4, -v45
	v_add_f16_e32 v40, v47, v40
	v_mul_f16_e32 v47, 0x3bf1, v16
	v_fma_f16 v45, v11, s4, v45
	v_mul_f16_e32 v5, 0x3770, v5
	v_mul_f16_e32 v16, 0x3770, v16
	v_add_f16_e32 v46, v46, v48
	v_fma_f16 v48, v22, s4, v47
	v_add_f16_e32 v39, v45, v39
	v_fma_f16 v45, v22, s4, -v47
	v_fma_f16 v47, v11, s10, -v5
	v_fma_f16 v5, v11, s10, v5
	v_fma_f16 v11, v22, s10, -v16
	v_add_f16_e32 v11, v11, v19
	v_add_f16_e32 v19, v6, v4
	v_sub_f16_e32 v4, v6, v4
	v_add_f16_e32 v41, v47, v41
	v_fma_f16 v47, v22, s10, v16
	v_add_f16_e32 v16, v31, v28
	v_mul_f16_e32 v6, 0xbbf1, v4
	v_add_f16_e32 v5, v5, v18
	v_sub_f16_e32 v18, v31, v28
	v_fma_f16 v22, v16, s4, -v6
	v_add_f16_e32 v22, v22, v24
	v_mul_f16_e32 v24, 0xbbf1, v18
	v_fma_f16 v6, v16, s4, v6
	v_fma_f16 v28, v19, s4, v24
	v_add_f16_e32 v6, v6, v23
	v_fma_f16 v23, v19, s4, -v24
	v_mul_f16_e32 v24, 0xb3a8, v4
	v_add_f16_e32 v23, v23, v25
	v_fma_f16 v25, v16, s12, -v24
	v_add_f16_e32 v25, v25, v30
	v_mul_f16_e32 v30, 0xb3a8, v18
	v_fma_f16 v24, v16, s12, v24
	v_add_f16_e32 v24, v24, v27
	v_fma_f16 v27, v19, s12, -v30
	v_add_f16_e32 v27, v27, v29
	v_mul_f16_e32 v29, 0x3b7b, v4
	v_add_f16_e32 v28, v28, v32
	v_fma_f16 v31, v19, s12, v30
	v_fma_f16 v30, v16, s5, -v29
	v_mul_f16_e32 v32, 0x3b7b, v18
	v_fma_f16 v29, v16, s5, v29
	v_add_f16_e32 v30, v30, v36
	v_fma_f16 v36, v19, s5, v32
	v_add_f16_e32 v29, v29, v33
	v_fma_f16 v32, v19, s5, -v32
	v_mul_f16_e32 v33, 0x3770, v4
	v_add_f16_e32 v32, v32, v34
	v_fma_f16 v34, v16, s10, -v33
	v_add_f16_e32 v34, v34, v38
	v_mul_f16_e32 v38, 0x3770, v18
	v_fma_f16 v33, v16, s10, v33
	v_add_f16_e32 v43, v43, v49
	v_add_f16_e32 v31, v31, v42
	v_fma_f16 v42, v19, s10, v38
	v_add_f16_e32 v33, v33, v37
	v_fma_f16 v37, v19, s10, -v38
	v_mul_f16_e32 v38, 0xba95, v4
	v_add_f16_e32 v37, v37, v43
	v_fma_f16 v43, v16, s6, -v38
	v_add_f16_e32 v40, v43, v40
	v_mul_f16_e32 v43, 0xba95, v18
	v_fma_f16 v38, v16, s6, v38
	v_mul_f16_e32 v4, 0xb94e, v4
	v_add_f16_e32 v36, v36, v44
	v_fma_f16 v44, v19, s6, v43
	v_add_f16_e32 v38, v38, v39
	v_fma_f16 v39, v19, s6, -v43
	v_fma_f16 v43, v16, s11, -v4
	v_mul_f16_e32 v18, 0xb94e, v18
	v_fma_f16 v4, v16, s11, v4
	v_add_f16_e32 v41, v43, v41
	v_fma_f16 v43, v19, s11, v18
	v_add_f16_e32 v4, v4, v5
	v_fma_f16 v5, v19, s11, -v18
	v_sub_f16_e32 v18, v26, v21
	v_add_f16_e32 v5, v5, v11
	v_add_f16_e32 v11, v7, v20
	v_sub_f16_e32 v7, v7, v20
	v_mul_f16_e32 v19, 0xbb7b, v18
	v_add_f16_e32 v16, v26, v21
	v_fma_f16 v20, v11, s5, -v19
	v_mul_f16_e32 v21, 0xbb7b, v7
	v_fma_f16 v19, v11, s5, v19
	v_add_f16_e32 v20, v20, v22
	v_fma_f16 v22, v16, s5, v21
	v_add_f16_e32 v6, v19, v6
	v_fma_f16 v19, v16, s5, -v21
	v_mul_f16_e32 v21, 0x394e, v18
	v_add_f16_e32 v19, v19, v23
	v_fma_f16 v23, v11, s11, -v21
	v_add_f16_e32 v23, v23, v25
	v_mul_f16_e32 v25, 0x394e, v7
	v_fma_f16 v21, v11, s11, v21
	v_fma_f16 v26, v16, s11, v25
	v_add_f16_e32 v21, v21, v24
	v_fma_f16 v24, v16, s11, -v25
	v_mul_f16_e32 v25, 0x3770, v18
	v_add_f16_e32 v22, v22, v28
	v_add_f16_e32 v24, v24, v27
	v_fma_f16 v27, v11, s10, -v25
	v_mul_f16_e32 v28, 0x3770, v7
	v_fma_f16 v25, v11, s10, v25
	v_add_f16_e32 v27, v27, v30
	v_fma_f16 v30, v16, s10, v28
	v_add_f16_e32 v25, v25, v29
	v_fma_f16 v28, v16, s10, -v28
	v_mul_f16_e32 v29, 0xbbf1, v18
	v_add_f16_e32 v26, v26, v31
	v_add_f16_e32 v28, v28, v32
	v_fma_f16 v31, v11, s4, -v29
	v_mul_f16_e32 v32, 0xbbf1, v7
	v_fma_f16 v29, v11, s4, v29
	v_add_f16_e32 v31, v31, v34
	v_fma_f16 v34, v16, s4, v32
	v_add_f16_e32 v29, v29, v33
	v_fma_f16 v32, v16, s4, -v32
	v_mul_f16_e32 v33, 0x33a8, v18
	v_add_f16_e32 v45, v45, v51
	v_add_f16_e32 v30, v30, v36
	;; [unrolled: 1-line block ×3, first 2 shown]
	v_fma_f16 v36, v11, s12, -v33
	v_mul_f16_e32 v37, 0x33a8, v7
	v_add_f16_e32 v39, v39, v45
	v_add_f16_e32 v36, v36, v40
	v_fma_f16 v40, v16, s12, v37
	v_fma_f16 v33, v11, s12, v33
	v_fma_f16 v37, v16, s12, -v37
	v_mul_f16_e32 v18, 0x3a95, v18
	v_mul_f16_e32 v7, 0x3a95, v7
	v_add_f16_e32 v33, v33, v38
	v_add_f16_e32 v37, v37, v39
	v_fma_f16 v38, v11, s6, -v18
	v_fma_f16 v39, v16, s6, v7
	v_fma_f16 v11, v11, s6, v18
	v_fma_f16 v7, v16, s6, -v7
	v_add_f16_e32 v16, v9, v12
	v_sub_f16_e32 v9, v9, v12
	v_add_f16_e32 v4, v11, v4
	v_add_f16_e32 v5, v7, v5
	;; [unrolled: 1-line block ×3, first 2 shown]
	v_sub_f16_e32 v11, v35, v17
	v_mul_f16_e32 v12, 0xb94e, v9
	v_fma_f16 v17, v7, s11, -v12
	v_mul_f16_e32 v18, 0xb94e, v11
	v_fma_f16 v12, v7, s11, v12
	v_add_f16_e32 v17, v17, v20
	v_fma_f16 v20, v16, s11, v18
	v_add_f16_e32 v6, v12, v6
	v_fma_f16 v12, v16, s11, -v18
	v_mul_f16_e32 v18, 0x3bf1, v9
	v_add_f16_e32 v20, v20, v22
	v_add_f16_e32 v12, v12, v19
	v_fma_f16 v19, v7, s4, -v18
	v_mul_f16_e32 v22, 0x3bf1, v11
	v_fma_f16 v18, v7, s4, v18
	v_add_f16_e32 v19, v19, v23
	v_fma_f16 v23, v16, s4, v22
	v_add_f16_e32 v18, v18, v21
	v_fma_f16 v21, v16, s4, -v22
	v_mul_f16_e32 v22, 0xba95, v9
	v_add_f16_e32 v21, v21, v24
	v_fma_f16 v24, v7, s6, -v22
	v_add_f16_e32 v47, v47, v52
	v_add_f16_e32 v42, v42, v46
	;; [unrolled: 1-line block ×3, first 2 shown]
	v_mul_f16_e32 v24, 0xba95, v11
	v_fma_f16 v22, v7, s6, v22
	v_add_f16_e32 v43, v43, v47
	v_add_f16_e32 v34, v34, v42
	;; [unrolled: 1-line block ×3, first 2 shown]
	v_fma_f16 v22, v16, s6, -v24
	v_add_f16_e32 v39, v39, v43
	v_add_f16_e32 v43, v22, v28
	v_mul_f16_e32 v22, 0x33a8, v9
	v_add_f16_e32 v48, v48, v50
	v_add_f16_e32 v23, v23, v26
	v_fma_f16 v26, v16, s6, v24
	v_fma_f16 v24, v7, s12, -v22
	v_add_f16_e32 v44, v44, v48
	v_add_f16_e32 v31, v24, v31
	v_mul_f16_e32 v24, 0x33a8, v11
	v_fma_f16 v22, v7, s12, v22
	v_add_f16_e32 v40, v40, v44
	v_add_f16_e32 v44, v22, v29
	v_fma_f16 v22, v16, s12, -v24
	v_add_f16_e32 v32, v22, v32
	v_mul_f16_e32 v22, 0x3770, v9
	v_fma_f16 v25, v16, s12, v24
	v_fma_f16 v24, v7, s10, -v22
	v_add_f16_e32 v36, v24, v36
	v_mul_f16_e32 v24, 0x3770, v11
	v_fma_f16 v22, v7, s10, v22
	v_add_f16_e32 v33, v22, v33
	v_fma_f16 v22, v16, s10, -v24
	v_mul_f16_e32 v9, 0xbb7b, v9
	v_add_f16_e32 v38, v38, v41
	v_add_f16_e32 v37, v22, v37
	v_fma_f16 v22, v7, s5, -v9
	v_mul_f16_e32 v11, 0xbb7b, v11
	v_add_f16_e32 v38, v22, v38
	v_fma_f16 v22, v16, s5, v11
	v_fma_f16 v7, v7, s5, v9
	v_add_f16_e32 v41, v26, v30
	v_add_f16_e32 v26, v22, v39
	;; [unrolled: 1-line block ×3, first 2 shown]
	v_fma_f16 v4, v16, s5, -v11
	v_add_f16_e32 v30, v10, v14
	v_sub_f16_e32 v39, v10, v14
	v_sub_f16_e32 v14, v13, v8
	v_add_f16_e32 v28, v4, v5
	v_mul_f16_e32 v4, 0xb3a8, v14
	v_fma_f16 v5, v30, s12, -v4
	v_add_f16_e32 v34, v25, v34
	v_fma_f16 v25, v16, s10, v24
	v_add_f16_e32 v29, v13, v8
	v_add_f16_e32 v24, v5, v17
	v_mul_f16_e32 v5, 0xb3a8, v39
	v_fma_f16 v4, v30, s12, v4
	v_fma_f16 v7, v29, s12, v5
	v_add_f16_e32 v4, v4, v6
	v_mul_f16_e32 v6, 0x3770, v14
	v_add_f16_e32 v40, v25, v40
	v_add_f16_e32 v25, v7, v20
	v_fma_f16 v7, v30, s10, -v6
	v_add_f16_e32 v22, v7, v19
	v_mul_f16_e32 v7, 0x3770, v39
	v_fma_f16 v8, v29, s10, v7
	v_add_f16_e32 v23, v8, v23
	v_mul_f16_e32 v8, 0xb94e, v14
	v_fma_f16 v9, v30, s11, -v8
	v_add_f16_e32 v20, v9, v35
	v_mul_f16_e32 v9, 0xb94e, v39
	v_fma_f16 v7, v29, s10, -v7
	v_fma_f16 v10, v29, s11, v9
	v_add_f16_e32 v7, v7, v21
	v_add_f16_e32 v21, v10, v41
	v_mul_f16_e32 v10, 0x3a95, v14
	v_fma_f16 v6, v30, s10, v6
	v_fma_f16 v11, v30, s6, -v10
	v_fma_f16 v5, v29, s12, -v5
	v_add_f16_e32 v6, v6, v18
	v_add_f16_e32 v18, v11, v31
	v_mul_f16_e32 v11, 0x3a95, v39
	v_add_f16_e32 v5, v5, v12
	v_fma_f16 v12, v29, s6, v11
	v_fma_f16 v11, v29, s6, -v11
	v_add_f16_e32 v11, v11, v32
	v_mad_u64_u32 v[31:32], s[8:9], s16, v1, 0
	v_add_f16_e32 v19, v12, v34
	v_mul_f16_e32 v12, 0xbb7b, v14
	v_mul_f16_e32 v34, 0x3bf1, v39
	v_fma_f16 v13, v30, s5, -v12
	v_fma_f16 v12, v30, s5, v12
	v_fma_f16 v35, v29, s4, v34
	v_add_f16_e32 v12, v12, v33
	v_mul_f16_e32 v33, 0x3bf1, v14
	v_add_f16_e32 v35, v35, v26
	v_mov_b32_e32 v26, v32
	v_fma_f16 v8, v30, s11, v8
	v_fma_f16 v10, v30, s6, v10
	v_fma_f16 v14, v30, s4, -v33
	v_fma_f16 v30, v30, s4, v33
	v_mad_u64_u32 v[32:33], s[8:9], s17, v1, v[26:27]
	v_fma_f16 v1, v29, s4, -v34
	v_add_f16_e32 v16, v13, v36
	v_mul_f16_e32 v13, 0xbb7b, v39
	v_add_f16_e32 v26, v30, v27
	v_add_f16_e32 v27, v1, v28
	v_mul_lo_u32 v1, v0, s18
	v_fma_f16 v9, v29, s11, -v9
	v_fma_f16 v17, v29, s5, v13
	v_fma_f16 v13, v29, s5, -v13
	v_lshlrev_b64 v[28:29], 2, v[31:32]
	v_add_f16_e32 v17, v17, v40
	v_add_co_u32_e32 v0, vcc, s0, v28
	v_addc_co_u32_e32 v3, vcc, v3, v29, vcc
	v_lshlrev_b64 v[28:29], 2, v[1:2]
	s_mul_i32 s0, s18, 13
	v_add_co_u32_e32 v28, vcc, v0, v28
	v_addc_co_u32_e32 v29, vcc, v3, v29, vcc
	v_add_u32_e32 v1, s0, v1
	global_store_dword v[28:29], v15, off
	v_lshlrev_b64 v[28:29], 2, v[1:2]
	v_add_u32_e32 v1, s0, v1
	v_add_co_u32_e32 v28, vcc, v0, v28
	v_pack_b32_f16 v15, v24, v25
	v_lshlrev_b64 v[24:25], 2, v[1:2]
	v_addc_co_u32_e32 v29, vcc, v3, v29, vcc
	v_add_u32_e32 v1, s0, v1
	global_store_dword v[28:29], v15, off
	v_add_co_u32_e32 v24, vcc, v0, v24
	v_pack_b32_f16 v15, v22, v23
	v_lshlrev_b64 v[22:23], 2, v[1:2]
	v_addc_co_u32_e32 v25, vcc, v3, v25, vcc
	v_add_u32_e32 v1, s0, v1
	global_store_dword v[24:25], v15, off
	;; [unrolled: 6-line block ×3, first 2 shown]
	v_add_co_u32_e32 v20, vcc, v0, v20
	v_pack_b32_f16 v15, v18, v19
	v_lshlrev_b64 v[18:19], 2, v[1:2]
	v_addc_co_u32_e32 v21, vcc, v3, v21, vcc
	v_add_co_u32_e32 v18, vcc, v0, v18
	global_store_dword v[20:21], v15, off
	v_addc_co_u32_e32 v19, vcc, v3, v19, vcc
	v_pack_b32_f16 v15, v16, v17
	v_add_u32_e32 v1, s0, v1
	global_store_dword v[18:19], v15, off
	v_lshlrev_b64 v[15:16], 2, v[1:2]
	v_add_f16_e32 v14, v14, v38
	v_add_co_u32_e32 v15, vcc, v0, v15
	v_addc_co_u32_e32 v16, vcc, v3, v16, vcc
	v_pack_b32_f16 v14, v14, v35
	v_add_u32_e32 v1, s0, v1
	global_store_dword v[15:16], v14, off
	v_lshlrev_b64 v[14:15], 2, v[1:2]
	v_pack_b32_f16 v16, v26, v27
	v_add_co_u32_e32 v14, vcc, v0, v14
	v_addc_co_u32_e32 v15, vcc, v3, v15, vcc
	v_add_u32_e32 v1, s0, v1
	global_store_dword v[14:15], v16, off
	v_lshlrev_b64 v[14:15], 2, v[1:2]
	v_add_f16_e32 v13, v13, v37
	v_add_co_u32_e32 v14, vcc, v0, v14
	v_addc_co_u32_e32 v15, vcc, v3, v15, vcc
	v_pack_b32_f16 v12, v12, v13
	v_add_u32_e32 v1, s0, v1
	global_store_dword v[14:15], v12, off
	v_lshlrev_b64 v[12:13], 2, v[1:2]
	v_add_f16_e32 v10, v10, v44
	v_add_co_u32_e32 v12, vcc, v0, v12
	v_addc_co_u32_e32 v13, vcc, v3, v13, vcc
	v_pack_b32_f16 v10, v10, v11
	v_add_u32_e32 v1, s0, v1
	global_store_dword v[12:13], v10, off
	v_lshlrev_b64 v[10:11], 2, v[1:2]
	v_add_f16_e32 v8, v8, v42
	v_add_f16_e32 v9, v9, v43
	v_add_co_u32_e32 v10, vcc, v0, v10
	v_addc_co_u32_e32 v11, vcc, v3, v11, vcc
	v_pack_b32_f16 v8, v8, v9
	v_add_u32_e32 v1, s0, v1
	global_store_dword v[10:11], v8, off
	v_lshlrev_b64 v[8:9], 2, v[1:2]
	v_add_u32_e32 v1, s0, v1
	v_add_co_u32_e32 v8, vcc, v0, v8
	v_lshlrev_b64 v[1:2], 2, v[1:2]
	v_addc_co_u32_e32 v9, vcc, v3, v9, vcc
	v_add_co_u32_e32 v0, vcc, v0, v1
	v_pack_b32_f16 v6, v6, v7
	v_addc_co_u32_e32 v1, vcc, v3, v2, vcc
	v_pack_b32_f16 v2, v4, v5
	global_store_dword v[8:9], v6, off
	global_store_dword v[0:1], v2, off
	s_endpgm
	.section	.rodata,"a",@progbits
	.p2align	6, 0x0
	.amdhsa_kernel fft_rtc_fwd_len169_factors_13_13_wgs_156_tpt_13_half_op_CI_CI_sbrc_aligned_dirReg
		.amdhsa_group_segment_fixed_size 0
		.amdhsa_private_segment_fixed_size 0
		.amdhsa_kernarg_size 104
		.amdhsa_user_sgpr_count 6
		.amdhsa_user_sgpr_private_segment_buffer 1
		.amdhsa_user_sgpr_dispatch_ptr 0
		.amdhsa_user_sgpr_queue_ptr 0
		.amdhsa_user_sgpr_kernarg_segment_ptr 1
		.amdhsa_user_sgpr_dispatch_id 0
		.amdhsa_user_sgpr_flat_scratch_init 0
		.amdhsa_user_sgpr_private_segment_size 0
		.amdhsa_uses_dynamic_stack 0
		.amdhsa_system_sgpr_private_segment_wavefront_offset 0
		.amdhsa_system_sgpr_workgroup_id_x 1
		.amdhsa_system_sgpr_workgroup_id_y 0
		.amdhsa_system_sgpr_workgroup_id_z 0
		.amdhsa_system_sgpr_workgroup_info 0
		.amdhsa_system_vgpr_workitem_id 0
		.amdhsa_next_free_vgpr 57
		.amdhsa_next_free_sgpr 43
		.amdhsa_reserve_vcc 1
		.amdhsa_reserve_flat_scratch 0
		.amdhsa_float_round_mode_32 0
		.amdhsa_float_round_mode_16_64 0
		.amdhsa_float_denorm_mode_32 3
		.amdhsa_float_denorm_mode_16_64 3
		.amdhsa_dx10_clamp 1
		.amdhsa_ieee_mode 1
		.amdhsa_fp16_overflow 0
		.amdhsa_exception_fp_ieee_invalid_op 0
		.amdhsa_exception_fp_denorm_src 0
		.amdhsa_exception_fp_ieee_div_zero 0
		.amdhsa_exception_fp_ieee_overflow 0
		.amdhsa_exception_fp_ieee_underflow 0
		.amdhsa_exception_fp_ieee_inexact 0
		.amdhsa_exception_int_div_zero 0
	.end_amdhsa_kernel
	.text
.Lfunc_end0:
	.size	fft_rtc_fwd_len169_factors_13_13_wgs_156_tpt_13_half_op_CI_CI_sbrc_aligned_dirReg, .Lfunc_end0-fft_rtc_fwd_len169_factors_13_13_wgs_156_tpt_13_half_op_CI_CI_sbrc_aligned_dirReg
                                        ; -- End function
	.section	.AMDGPU.csdata,"",@progbits
; Kernel info:
; codeLenInByte = 9620
; NumSgprs: 47
; NumVgprs: 57
; ScratchSize: 0
; MemoryBound: 0
; FloatMode: 240
; IeeeMode: 1
; LDSByteSize: 0 bytes/workgroup (compile time only)
; SGPRBlocks: 5
; VGPRBlocks: 14
; NumSGPRsForWavesPerEU: 47
; NumVGPRsForWavesPerEU: 57
; Occupancy: 4
; WaveLimiterHint : 1
; COMPUTE_PGM_RSRC2:SCRATCH_EN: 0
; COMPUTE_PGM_RSRC2:USER_SGPR: 6
; COMPUTE_PGM_RSRC2:TRAP_HANDLER: 0
; COMPUTE_PGM_RSRC2:TGID_X_EN: 1
; COMPUTE_PGM_RSRC2:TGID_Y_EN: 0
; COMPUTE_PGM_RSRC2:TGID_Z_EN: 0
; COMPUTE_PGM_RSRC2:TIDIG_COMP_CNT: 0
	.type	__hip_cuid_4192fbc9289ca23a,@object ; @__hip_cuid_4192fbc9289ca23a
	.section	.bss,"aw",@nobits
	.globl	__hip_cuid_4192fbc9289ca23a
__hip_cuid_4192fbc9289ca23a:
	.byte	0                               ; 0x0
	.size	__hip_cuid_4192fbc9289ca23a, 1

	.ident	"AMD clang version 19.0.0git (https://github.com/RadeonOpenCompute/llvm-project roc-6.4.0 25133 c7fe45cf4b819c5991fe208aaa96edf142730f1d)"
	.section	".note.GNU-stack","",@progbits
	.addrsig
	.addrsig_sym __hip_cuid_4192fbc9289ca23a
	.amdgpu_metadata
---
amdhsa.kernels:
  - .args:
      - .actual_access:  read_only
        .address_space:  global
        .offset:         0
        .size:           8
        .value_kind:     global_buffer
      - .offset:         8
        .size:           8
        .value_kind:     by_value
      - .actual_access:  read_only
        .address_space:  global
        .offset:         16
        .size:           8
        .value_kind:     global_buffer
      - .actual_access:  read_only
        .address_space:  global
        .offset:         24
        .size:           8
        .value_kind:     global_buffer
      - .actual_access:  read_only
        .address_space:  global
        .offset:         32
        .size:           8
        .value_kind:     global_buffer
      - .offset:         40
        .size:           8
        .value_kind:     by_value
      - .actual_access:  read_only
        .address_space:  global
        .offset:         48
        .size:           8
        .value_kind:     global_buffer
      - .actual_access:  read_only
        .address_space:  global
        .offset:         56
        .size:           8
        .value_kind:     global_buffer
      - .offset:         64
        .size:           4
        .value_kind:     by_value
      - .actual_access:  read_only
        .address_space:  global
        .offset:         72
        .size:           8
        .value_kind:     global_buffer
      - .actual_access:  read_only
        .address_space:  global
        .offset:         80
        .size:           8
        .value_kind:     global_buffer
      - .actual_access:  read_only
        .address_space:  global
        .offset:         88
        .size:           8
        .value_kind:     global_buffer
      - .actual_access:  write_only
        .address_space:  global
        .offset:         96
        .size:           8
        .value_kind:     global_buffer
    .group_segment_fixed_size: 0
    .kernarg_segment_align: 8
    .kernarg_segment_size: 104
    .language:       OpenCL C
    .language_version:
      - 2
      - 0
    .max_flat_workgroup_size: 156
    .name:           fft_rtc_fwd_len169_factors_13_13_wgs_156_tpt_13_half_op_CI_CI_sbrc_aligned_dirReg
    .private_segment_fixed_size: 0
    .sgpr_count:     47
    .sgpr_spill_count: 0
    .symbol:         fft_rtc_fwd_len169_factors_13_13_wgs_156_tpt_13_half_op_CI_CI_sbrc_aligned_dirReg.kd
    .uniform_work_group_size: 1
    .uses_dynamic_stack: false
    .vgpr_count:     57
    .vgpr_spill_count: 0
    .wavefront_size: 64
amdhsa.target:   amdgcn-amd-amdhsa--gfx906
amdhsa.version:
  - 1
  - 2
...

	.end_amdgpu_metadata
